;; amdgpu-corpus repo=ROCm/rocFFT kind=compiled arch=gfx906 opt=O3
	.text
	.amdgcn_target "amdgcn-amd-amdhsa--gfx906"
	.amdhsa_code_object_version 6
	.protected	fft_rtc_back_len200_factors_5_8_5_wgs_400_tpt_40_dp_ip_CI_sbcc_dirReg_intrinsicRead ; -- Begin function fft_rtc_back_len200_factors_5_8_5_wgs_400_tpt_40_dp_ip_CI_sbcc_dirReg_intrinsicRead
	.globl	fft_rtc_back_len200_factors_5_8_5_wgs_400_tpt_40_dp_ip_CI_sbcc_dirReg_intrinsicRead
	.p2align	8
	.type	fft_rtc_back_len200_factors_5_8_5_wgs_400_tpt_40_dp_ip_CI_sbcc_dirReg_intrinsicRead,@function
fft_rtc_back_len200_factors_5_8_5_wgs_400_tpt_40_dp_ip_CI_sbcc_dirReg_intrinsicRead: ; @fft_rtc_back_len200_factors_5_8_5_wgs_400_tpt_40_dp_ip_CI_sbcc_dirReg_intrinsicRead
; %bb.0:
	s_load_dwordx4 s[0:3], s[4:5], 0x18
	s_mov_b32 s7, 0
	s_mov_b64 s[22:23], 0
	s_waitcnt lgkmcnt(0)
	s_load_dwordx2 s[14:15], s[0:1], 0x8
	s_waitcnt lgkmcnt(0)
	s_add_u32 s8, s14, -1
	s_addc_u32 s9, s15, -1
	s_add_u32 s10, 0, 0x99986000
	s_addc_u32 s11, 0, 0x59
	s_mul_hi_u32 s13, s10, -10
	s_add_i32 s11, s11, 0x19999940
	s_sub_i32 s13, s13, s10
	s_mul_i32 s18, s11, -10
	s_mul_i32 s12, s10, -10
	s_add_i32 s13, s13, s18
	s_mul_hi_u32 s16, s11, s12
	s_mul_i32 s17, s11, s12
	s_mul_i32 s19, s10, s13
	s_mul_hi_u32 s12, s10, s12
	s_mul_hi_u32 s18, s10, s13
	s_add_u32 s12, s12, s19
	s_addc_u32 s18, 0, s18
	s_add_u32 s12, s12, s17
	s_mul_hi_u32 s19, s11, s13
	s_addc_u32 s12, s18, s16
	s_addc_u32 s16, s19, 0
	s_mul_i32 s13, s11, s13
	s_add_u32 s12, s12, s13
	v_mov_b32_e32 v1, s12
	s_addc_u32 s13, 0, s16
	v_add_co_u32_e32 v1, vcc, s10, v1
	s_cmp_lg_u64 vcc, 0
	s_addc_u32 s10, s11, s13
	v_readfirstlane_b32 s13, v1
	s_mul_i32 s12, s8, s10
	s_mul_hi_u32 s16, s8, s13
	s_mul_hi_u32 s11, s8, s10
	s_add_u32 s12, s16, s12
	s_addc_u32 s11, 0, s11
	s_mul_hi_u32 s17, s9, s13
	s_mul_i32 s13, s9, s13
	s_add_u32 s12, s12, s13
	s_mul_hi_u32 s16, s9, s10
	s_addc_u32 s11, s11, s17
	s_addc_u32 s12, s16, 0
	s_mul_i32 s10, s9, s10
	s_add_u32 s10, s11, s10
	s_addc_u32 s11, 0, s12
	s_add_u32 s12, s10, 1
	s_addc_u32 s13, s11, 0
	s_add_u32 s16, s10, 2
	s_mul_i32 s18, s11, 10
	s_mul_hi_u32 s19, s10, 10
	s_addc_u32 s17, s11, 0
	s_add_i32 s19, s19, s18
	s_mul_i32 s18, s10, 10
	v_mov_b32_e32 v1, s18
	v_sub_co_u32_e32 v1, vcc, s8, v1
	s_cmp_lg_u64 vcc, 0
	s_subb_u32 s8, s9, s19
	v_subrev_co_u32_e32 v2, vcc, 10, v1
	s_cmp_lg_u64 vcc, 0
	s_subb_u32 s9, s8, 0
	v_readfirstlane_b32 s18, v2
	s_cmp_gt_u32 s18, 9
	s_cselect_b32 s18, -1, 0
	s_cmp_eq_u32 s9, 0
	s_cselect_b32 s9, s18, -1
	s_cmp_lg_u32 s9, 0
	s_cselect_b32 s9, s16, s12
	s_cselect_b32 s12, s17, s13
	v_readfirstlane_b32 s13, v1
	s_cmp_gt_u32 s13, 9
	s_cselect_b32 s13, -1, 0
	s_cmp_eq_u32 s8, 0
	s_cselect_b32 s8, s13, -1
	s_cmp_lg_u32 s8, 0
	s_cselect_b32 s9, s9, s10
	s_cselect_b32 s8, s12, s11
	s_add_u32 s18, s9, 1
	s_addc_u32 s19, s8, 0
	v_mov_b32_e32 v1, s18
	v_mov_b32_e32 v2, s19
	v_cmp_lt_u64_e32 vcc, s[6:7], v[1:2]
	s_cbranch_vccnz .LBB0_2
; %bb.1:
	v_cvt_f32_u32_e32 v1, s18
	s_sub_i32 s8, 0, s18
	s_mov_b32 s23, s7
	v_rcp_iflag_f32_e32 v1, v1
	v_mul_f32_e32 v1, 0x4f7ffffe, v1
	v_cvt_u32_f32_e32 v1, v1
	v_readfirstlane_b32 s9, v1
	s_mul_i32 s8, s8, s9
	s_mul_hi_u32 s8, s9, s8
	s_add_i32 s9, s9, s8
	s_mul_hi_u32 s8, s6, s9
	s_mul_i32 s10, s8, s18
	s_sub_i32 s10, s6, s10
	s_add_i32 s9, s8, 1
	s_sub_i32 s11, s10, s18
	s_cmp_ge_u32 s10, s18
	s_cselect_b32 s8, s9, s8
	s_cselect_b32 s10, s11, s10
	s_add_i32 s9, s8, 1
	s_cmp_ge_u32 s10, s18
	s_cselect_b32 s22, s9, s8
.LBB0_2:
	s_load_dwordx2 s[16:17], s[4:5], 0x0
	s_load_dwordx4 s[8:11], s[2:3], 0x0
	s_load_dwordx2 s[12:13], s[4:5], 0x58
	s_load_dwordx2 s[20:21], s[4:5], 0x10
	s_mul_i32 s4, s22, s19
	s_mul_hi_u32 s5, s22, s18
	s_add_i32 s5, s5, s4
	s_mul_i32 s4, s22, s18
	s_sub_u32 s36, s6, s4
	s_subb_u32 s4, 0, s5
	s_mul_i32 s4, s4, 10
	s_mul_hi_u32 s33, s36, 10
	s_add_i32 s33, s33, s4
	s_mul_i32 s36, s36, 10
	s_waitcnt lgkmcnt(0)
	s_mul_i32 s4, s10, s33
	s_mul_hi_u32 s5, s10, s36
	s_add_i32 s4, s5, s4
	s_mul_i32 s5, s11, s36
	s_add_i32 s37, s4, s5
	v_cmp_lt_u64_e64 s[4:5], s[20:21], 3
	s_mul_i32 s38, s10, s36
	s_and_b64 vcc, exec, s[4:5]
	s_cbranch_vccnz .LBB0_12
; %bb.3:
	s_add_u32 s4, s2, 16
	s_addc_u32 s5, s3, 0
	s_add_u32 s24, s0, 16
	v_mov_b32_e32 v1, s20
	s_addc_u32 s25, s1, 0
	s_mov_b64 s[26:27], 2
	s_mov_b32 s28, 0
	v_mov_b32_e32 v2, s21
.LBB0_4:                                ; =>This Inner Loop Header: Depth=1
	s_load_dwordx2 s[30:31], s[24:25], 0x0
	s_waitcnt lgkmcnt(0)
	s_or_b64 s[0:1], s[22:23], s[30:31]
	s_mov_b32 s29, s1
	s_cmp_lg_u64 s[28:29], 0
	s_cbranch_scc0 .LBB0_9
; %bb.5:                                ;   in Loop: Header=BB0_4 Depth=1
	v_cvt_f32_u32_e32 v3, s30
	v_cvt_f32_u32_e32 v4, s31
	s_sub_u32 s0, 0, s30
	s_subb_u32 s1, 0, s31
	v_mac_f32_e32 v3, 0x4f800000, v4
	v_rcp_f32_e32 v3, v3
	v_mul_f32_e32 v3, 0x5f7ffffc, v3
	v_mul_f32_e32 v4, 0x2f800000, v3
	v_trunc_f32_e32 v4, v4
	v_mac_f32_e32 v3, 0xcf800000, v4
	v_cvt_u32_f32_e32 v4, v4
	v_cvt_u32_f32_e32 v3, v3
	v_readfirstlane_b32 s29, v4
	v_readfirstlane_b32 s34, v3
	s_mul_i32 s35, s0, s29
	s_mul_hi_u32 s40, s0, s34
	s_mul_i32 s39, s1, s34
	s_add_i32 s35, s40, s35
	s_mul_i32 s41, s0, s34
	s_add_i32 s35, s35, s39
	s_mul_hi_u32 s39, s34, s35
	s_mul_i32 s40, s34, s35
	s_mul_hi_u32 s34, s34, s41
	s_add_u32 s34, s34, s40
	s_addc_u32 s39, 0, s39
	s_mul_hi_u32 s42, s29, s41
	s_mul_i32 s41, s29, s41
	s_add_u32 s34, s34, s41
	s_mul_hi_u32 s40, s29, s35
	s_addc_u32 s34, s39, s42
	s_addc_u32 s39, s40, 0
	s_mul_i32 s35, s29, s35
	s_add_u32 s34, s34, s35
	s_addc_u32 s35, 0, s39
	v_add_co_u32_e32 v3, vcc, s34, v3
	s_cmp_lg_u64 vcc, 0
	s_addc_u32 s29, s29, s35
	v_readfirstlane_b32 s35, v3
	s_mul_i32 s34, s0, s29
	s_mul_hi_u32 s39, s0, s35
	s_add_i32 s34, s39, s34
	s_mul_i32 s1, s1, s35
	s_add_i32 s34, s34, s1
	s_mul_i32 s0, s0, s35
	s_mul_hi_u32 s39, s29, s0
	s_mul_i32 s40, s29, s0
	s_mul_i32 s42, s35, s34
	s_mul_hi_u32 s0, s35, s0
	s_mul_hi_u32 s41, s35, s34
	s_add_u32 s0, s0, s42
	s_addc_u32 s35, 0, s41
	s_add_u32 s0, s0, s40
	s_mul_hi_u32 s1, s29, s34
	s_addc_u32 s0, s35, s39
	s_addc_u32 s1, s1, 0
	s_mul_i32 s34, s29, s34
	s_add_u32 s0, s0, s34
	s_addc_u32 s1, 0, s1
	v_add_co_u32_e32 v3, vcc, s0, v3
	s_cmp_lg_u64 vcc, 0
	s_addc_u32 s0, s29, s1
	v_readfirstlane_b32 s34, v3
	s_mul_i32 s29, s22, s0
	s_mul_hi_u32 s35, s22, s34
	s_mul_hi_u32 s1, s22, s0
	s_add_u32 s29, s35, s29
	s_addc_u32 s1, 0, s1
	s_mul_hi_u32 s39, s23, s34
	s_mul_i32 s34, s23, s34
	s_add_u32 s29, s29, s34
	s_mul_hi_u32 s35, s23, s0
	s_addc_u32 s1, s1, s39
	s_addc_u32 s29, s35, 0
	s_mul_i32 s0, s23, s0
	s_add_u32 s34, s1, s0
	s_addc_u32 s29, 0, s29
	s_mul_i32 s0, s30, s29
	s_mul_hi_u32 s1, s30, s34
	s_add_i32 s0, s1, s0
	s_mul_i32 s1, s31, s34
	s_add_i32 s35, s0, s1
	s_mul_i32 s1, s30, s34
	v_mov_b32_e32 v3, s1
	s_sub_i32 s0, s23, s35
	v_sub_co_u32_e32 v3, vcc, s22, v3
	s_cmp_lg_u64 vcc, 0
	s_subb_u32 s39, s0, s31
	v_subrev_co_u32_e64 v4, s[0:1], s30, v3
	s_cmp_lg_u64 s[0:1], 0
	s_subb_u32 s0, s39, 0
	s_cmp_ge_u32 s0, s31
	v_readfirstlane_b32 s39, v4
	s_cselect_b32 s1, -1, 0
	s_cmp_ge_u32 s39, s30
	s_cselect_b32 s39, -1, 0
	s_cmp_eq_u32 s0, s31
	s_cselect_b32 s0, s39, s1
	s_add_u32 s1, s34, 1
	s_addc_u32 s39, s29, 0
	s_add_u32 s40, s34, 2
	s_addc_u32 s41, s29, 0
	s_cmp_lg_u32 s0, 0
	s_cselect_b32 s0, s40, s1
	s_cselect_b32 s1, s41, s39
	s_cmp_lg_u64 vcc, 0
	s_subb_u32 s35, s23, s35
	s_cmp_ge_u32 s35, s31
	v_readfirstlane_b32 s40, v3
	s_cselect_b32 s39, -1, 0
	s_cmp_ge_u32 s40, s30
	s_cselect_b32 s40, -1, 0
	s_cmp_eq_u32 s35, s31
	s_cselect_b32 s35, s40, s39
	s_cmp_lg_u32 s35, 0
	s_cselect_b32 s1, s1, s29
	s_cselect_b32 s0, s0, s34
	s_cbranch_execnz .LBB0_7
.LBB0_6:                                ;   in Loop: Header=BB0_4 Depth=1
	v_cvt_f32_u32_e32 v3, s30
	s_sub_i32 s0, 0, s30
	v_rcp_iflag_f32_e32 v3, v3
	v_mul_f32_e32 v3, 0x4f7ffffe, v3
	v_cvt_u32_f32_e32 v3, v3
	v_readfirstlane_b32 s1, v3
	s_mul_i32 s0, s0, s1
	s_mul_hi_u32 s0, s1, s0
	s_add_i32 s1, s1, s0
	s_mul_hi_u32 s0, s22, s1
	s_mul_i32 s29, s0, s30
	s_sub_i32 s29, s22, s29
	s_add_i32 s1, s0, 1
	s_sub_i32 s34, s29, s30
	s_cmp_ge_u32 s29, s30
	s_cselect_b32 s0, s1, s0
	s_cselect_b32 s29, s34, s29
	s_add_i32 s1, s0, 1
	s_cmp_ge_u32 s29, s30
	s_cselect_b32 s0, s1, s0
	s_mov_b32 s1, s28
.LBB0_7:                                ;   in Loop: Header=BB0_4 Depth=1
	s_mul_i32 s19, s30, s19
	s_mul_hi_u32 s29, s30, s18
	s_add_i32 s19, s29, s19
	s_mul_i32 s29, s31, s18
	s_add_i32 s19, s19, s29
	s_mul_i32 s29, s0, s31
	s_mul_hi_u32 s31, s0, s30
	s_load_dwordx2 s[34:35], s[4:5], 0x0
	s_add_i32 s29, s31, s29
	s_mul_i32 s31, s1, s30
	s_mul_i32 s18, s30, s18
	s_add_i32 s29, s29, s31
	s_mul_i32 s30, s0, s30
	s_sub_u32 s22, s22, s30
	s_subb_u32 s23, s23, s29
	s_waitcnt lgkmcnt(0)
	s_mul_i32 s23, s34, s23
	s_mul_hi_u32 s29, s34, s22
	s_add_i32 s23, s29, s23
	s_mul_i32 s29, s35, s22
	s_add_i32 s23, s23, s29
	s_mul_i32 s22, s34, s22
	s_add_u32 s38, s22, s38
	s_addc_u32 s37, s23, s37
	s_add_u32 s26, s26, 1
	s_addc_u32 s27, s27, 0
	;; [unrolled: 2-line block ×3, first 2 shown]
	v_cmp_ge_u64_e32 vcc, s[26:27], v[1:2]
	s_add_u32 s24, s24, 8
	s_addc_u32 s25, s25, 0
	s_cbranch_vccnz .LBB0_10
; %bb.8:                                ;   in Loop: Header=BB0_4 Depth=1
	s_mov_b64 s[22:23], s[0:1]
	s_branch .LBB0_4
.LBB0_9:                                ;   in Loop: Header=BB0_4 Depth=1
                                        ; implicit-def: $sgpr0_sgpr1
	s_branch .LBB0_6
.LBB0_10:
	v_mov_b32_e32 v1, s18
	v_mov_b32_e32 v2, s19
	v_cmp_lt_u64_e32 vcc, s[6:7], v[1:2]
	s_mov_b64 s[22:23], 0
	s_cbranch_vccnz .LBB0_12
; %bb.11:
	v_cvt_f32_u32_e32 v1, s18
	s_sub_i32 s0, 0, s18
	v_rcp_iflag_f32_e32 v1, v1
	v_mul_f32_e32 v1, 0x4f7ffffe, v1
	v_cvt_u32_f32_e32 v1, v1
	v_readfirstlane_b32 s1, v1
	s_mul_i32 s0, s0, s1
	s_mul_hi_u32 s0, s1, s0
	s_add_i32 s1, s1, s0
	s_mul_hi_u32 s0, s6, s1
	s_mul_i32 s4, s0, s18
	s_sub_i32 s4, s6, s4
	s_add_i32 s1, s0, 1
	s_sub_i32 s5, s4, s18
	s_cmp_ge_u32 s4, s18
	s_cselect_b32 s0, s1, s0
	s_cselect_b32 s4, s5, s4
	s_add_i32 s1, s0, 1
	s_cmp_ge_u32 s4, s18
	s_cselect_b32 s22, s1, s0
.LBB0_12:
	s_lshl_b64 s[0:1], s[20:21], 3
	s_add_u32 s0, s2, s0
	s_addc_u32 s1, s3, s1
	s_load_dwordx2 s[0:1], s[0:1], 0x0
	v_mul_u32_u24_e32 v1, 0x199a, v0
	v_lshrrev_b32_e32 v36, 16, v1
	v_mul_lo_u16_e32 v1, 10, v36
	v_sub_u16_e32 v35, v0, v1
	s_waitcnt lgkmcnt(0)
	s_mul_i32 s1, s1, s22
	s_mul_hi_u32 s2, s0, s22
	s_mul_i32 s0, s0, s22
	s_add_i32 s1, s2, s1
	s_add_u32 s2, s0, s38
	s_addc_u32 s3, s1, s37
	s_add_u32 s0, s36, 10
	v_mov_b32_e32 v1, s14
	s_addc_u32 s1, s33, 0
	v_mov_b32_e32 v2, s15
	v_cmp_le_u64_e32 vcc, s[0:1], v[1:2]
	v_mad_u64_u32 v[33:34], s[0:1], s10, v35, 0
	v_mov_b32_e32 v2, s33
	v_add_co_u32_e64 v1, s[0:1], s36, v35
	v_addc_co_u32_e64 v2, s[0:1], 0, v2, s[0:1]
	v_mul_lo_u32 v3, s8, v36
	v_cmp_gt_u64_e64 s[0:1], s[14:15], v[1:2]
	v_add_u32_e32 v2, 40, v36
	v_mul_lo_u32 v2, s8, v2
	v_add_lshl_u32 v1, v33, v3, 4
	s_or_b64 vcc, vcc, s[0:1]
	v_cndmask_b32_e32 v5, -1, v1, vcc
	v_add_lshl_u32 v1, v33, v2, 4
	v_cndmask_b32_e32 v6, -1, v1, vcc
	v_add_u32_e32 v1, 0x50, v36
	v_mul_lo_u32 v7, s8, v1
	v_add_u32_e32 v1, 0x78, v36
	v_mul_lo_u32 v8, s8, v1
	s_lshl_b32 s4, s2, 4
	s_mov_b32 s15, 0x20000
	s_mov_b32 s14, -2
	buffer_load_dwordx4 v[1:4], v5, s[12:15], s4 offen
	buffer_load_dwordx4 v[9:12], v6, s[12:15], s4 offen
	v_add_lshl_u32 v5, v33, v7, 4
	v_cndmask_b32_e32 v17, -1, v5, vcc
	v_add_lshl_u32 v5, v33, v8, 4
	v_cndmask_b32_e32 v18, -1, v5, vcc
	buffer_load_dwordx4 v[13:16], v17, s[12:15], s4 offen
	buffer_load_dwordx4 v[5:8], v18, s[12:15], s4 offen
	v_add_u32_e32 v17, 0xa0, v36
	v_mul_lo_u32 v17, s8, v17
	s_mov_b32 s0, 0x134454ff
	s_mov_b32 s1, 0xbfee6f0e
	;; [unrolled: 1-line block ×3, first 2 shown]
	v_add_lshl_u32 v17, v33, v17, 4
	v_cndmask_b32_e32 v17, -1, v17, vcc
	buffer_load_dwordx4 v[17:20], v17, s[12:15], s4 offen
	s_mov_b32 s4, s0
	s_mov_b32 s6, 0x4755a5e
	;; [unrolled: 1-line block ×7, first 2 shown]
	s_movk_i32 s10, 0x320
	s_movk_i32 s20, 0xfa
	s_waitcnt vmcnt(3)
	v_add_f64 v[21:22], v[1:2], v[9:10]
	v_add_f64 v[23:24], v[3:4], v[11:12]
	s_waitcnt vmcnt(2)
	v_add_f64 v[41:42], v[11:12], -v[15:16]
	s_waitcnt vmcnt(1)
	v_add_f64 v[25:26], v[13:14], v[5:6]
	v_add_f64 v[37:38], v[15:16], v[7:8]
	v_add_f64 v[43:44], v[15:16], -v[11:12]
	v_add_f64 v[27:28], v[15:16], -v[7:8]
	;; [unrolled: 1-line block ×5, first 2 shown]
	v_add_f64 v[13:14], v[21:22], v[13:14]
	s_waitcnt vmcnt(0)
	v_add_f64 v[45:46], v[11:12], -v[19:20]
	v_add_f64 v[47:48], v[9:10], v[17:18]
	v_add_f64 v[11:12], v[11:12], v[19:20]
	v_add_f64 v[9:10], v[9:10], -v[17:18]
	v_add_f64 v[51:52], v[5:6], -v[17:18]
	;; [unrolled: 1-line block ×4, first 2 shown]
	v_add_f64 v[15:16], v[23:24], v[15:16]
	v_fma_f64 v[21:22], v[25:26], -0.5, v[1:2]
	v_fma_f64 v[1:2], v[47:48], -0.5, v[1:2]
	;; [unrolled: 1-line block ×4, first 2 shown]
	v_add_f64 v[49:50], v[17:18], -v[5:6]
	v_add_f64 v[11:12], v[31:32], v[51:52]
	v_add_f64 v[31:32], v[43:44], v[55:56]
	;; [unrolled: 1-line block ×5, first 2 shown]
	v_fma_f64 v[13:14], v[27:28], s[4:5], v[1:2]
	v_fma_f64 v[15:16], v[27:28], s[0:1], v[1:2]
	;; [unrolled: 1-line block ×8, first 2 shown]
	v_add_f64 v[29:30], v[29:30], v[49:50]
	v_add_f64 v[1:2], v[5:6], v[17:18]
	;; [unrolled: 1-line block ×3, first 2 shown]
	v_fma_f64 v[5:6], v[45:46], s[6:7], v[13:14]
	v_fma_f64 v[7:8], v[9:10], s[14:15], v[41:42]
	;; [unrolled: 1-line block ×16, first 2 shown]
	v_mad_u32_u24 v9, v36, s10, 0
	v_cmp_gt_u32_e64 s[0:1], s20, v0
	v_lshl_add_u32 v10, v35, 4, v9
	v_lshlrev_b32_e32 v37, 4, v35
	ds_write_b128 v10, v[1:4]
	ds_write_b128 v10, v[21:24] offset:160
	ds_write_b128 v10, v[17:20] offset:320
	;; [unrolled: 1-line block ×4, first 2 shown]
	s_waitcnt lgkmcnt(0)
	s_barrier
	s_waitcnt lgkmcnt(0)
                                        ; implicit-def: $vgpr11_vgpr12
                                        ; implicit-def: $vgpr15_vgpr16
                                        ; implicit-def: $vgpr31_vgpr32
	s_and_saveexec_b64 s[4:5], s[0:1]
	s_cbranch_execz .LBB0_14
; %bb.13:
	v_mul_i32_i24_e32 v1, 0xfffffd80, v36
	v_add3_u32 v13, v9, v1, v37
	ds_read_b128 v[1:4], v13
	ds_read_b128 v[21:24], v13 offset:4000
	ds_read_b128 v[17:20], v13 offset:8000
	;; [unrolled: 1-line block ×7, first 2 shown]
.LBB0_14:
	s_or_b64 exec, exec, s[4:5]
	s_waitcnt lgkmcnt(0)
	s_barrier
	s_and_saveexec_b64 s[4:5], s[0:1]
	s_cbranch_execz .LBB0_16
; %bb.15:
	v_mul_lo_u16_e32 v60, 52, v36
	v_mov_b32_e32 v38, 5
	v_mul_lo_u16_sdwa v38, v60, v38 dst_sel:DWORD dst_unused:UNUSED_PAD src0_sel:BYTE_1 src1_sel:DWORD
	v_sub_u16_e32 v61, v36, v38
	v_mov_b32_e32 v38, 7
	v_mul_u32_u24_sdwa v38, v61, v38 dst_sel:DWORD dst_unused:UNUSED_PAD src0_sel:BYTE_0 src1_sel:DWORD
	v_lshlrev_b32_e32 v58, 4, v38
	global_load_dwordx4 v[38:41], v58, s[16:17]
	global_load_dwordx4 v[42:45], v58, s[16:17] offset:64
	global_load_dwordx4 v[46:49], v58, s[16:17] offset:16
	;; [unrolled: 1-line block ×3, first 2 shown]
	s_mov_b32 s0, 0x667f3bcd
	s_mov_b32 s1, 0x3fe6a09e
	;; [unrolled: 1-line block ×4, first 2 shown]
	s_waitcnt vmcnt(3)
	v_mul_f64 v[54:55], v[21:22], v[40:41]
	v_mul_f64 v[40:41], v[23:24], v[40:41]
	v_fma_f64 v[54:55], v[23:24], v[38:39], -v[54:55]
	v_fma_f64 v[56:57], v[21:22], v[38:39], v[40:41]
	global_load_dwordx4 v[21:24], v58, s[16:17] offset:80
	s_waitcnt vmcnt(3)
	v_mul_f64 v[38:39], v[29:30], v[44:45]
	v_mul_f64 v[40:41], v[31:32], v[44:45]
	v_fma_f64 v[44:45], v[31:32], v[42:43], -v[38:39]
	v_fma_f64 v[42:43], v[29:30], v[42:43], v[40:41]
	global_load_dwordx4 v[29:32], v58, s[16:17] offset:48
	global_load_dwordx4 v[38:41], v58, s[16:17] offset:96
	s_waitcnt vmcnt(3)
	v_mul_f64 v[58:59], v[27:28], v[52:53]
	v_mul_f64 v[52:53], v[25:26], v[52:53]
	v_fma_f64 v[25:26], v[25:26], v[50:51], v[58:59]
	v_fma_f64 v[27:28], v[27:28], v[50:51], -v[52:53]
	v_mul_f64 v[50:51], v[19:20], v[48:49]
	v_mul_f64 v[48:49], v[17:18], v[48:49]
	v_fma_f64 v[17:18], v[17:18], v[46:47], v[50:51]
	v_fma_f64 v[19:20], v[19:20], v[46:47], -v[48:49]
	v_mov_b32_e32 v48, 40
	v_mul_u32_u24_sdwa v48, v60, v48 dst_sel:DWORD dst_unused:UNUSED_PAD src0_sel:BYTE_1 src1_sel:DWORD
	s_waitcnt vmcnt(2)
	v_mul_f64 v[58:59], v[11:12], v[23:24]
	v_mul_f64 v[23:24], v[9:10], v[23:24]
	v_fma_f64 v[9:10], v[9:10], v[21:22], v[58:59]
	v_fma_f64 v[11:12], v[11:12], v[21:22], -v[23:24]
	s_waitcnt vmcnt(1)
	v_mul_f64 v[52:53], v[5:6], v[31:32]
	s_waitcnt vmcnt(0)
	v_mul_f64 v[46:47], v[15:16], v[40:41]
	v_mul_f64 v[40:41], v[13:14], v[40:41]
	;; [unrolled: 1-line block ×3, first 2 shown]
	v_add_f64 v[21:22], v[54:55], -v[44:45]
	v_add_f64 v[23:24], v[56:57], -v[42:43]
	;; [unrolled: 1-line block ×4, first 2 shown]
	v_fma_f64 v[7:8], v[7:8], v[29:30], -v[52:53]
	v_fma_f64 v[13:14], v[13:14], v[38:39], v[46:47]
	v_fma_f64 v[15:16], v[15:16], v[38:39], -v[40:41]
	v_fma_f64 v[5:6], v[5:6], v[29:30], v[31:32]
	v_or_b32_sdwa v29, v48, v61 dst_sel:DWORD dst_unused:UNUSED_PAD src0_sel:DWORD src1_sel:BYTE_0
	v_mul_u32_u24_e32 v50, 0xa0, v29
	v_fma_f64 v[38:39], v[56:57], 2.0, -v[23:24]
	v_fma_f64 v[19:20], v[19:20], 2.0, -v[11:12]
	v_add_f64 v[7:8], v[3:4], -v[7:8]
	v_add_f64 v[13:14], v[25:26], -v[13:14]
	;; [unrolled: 1-line block ×6, first 2 shown]
	v_fma_f64 v[3:4], v[3:4], 2.0, -v[7:8]
	v_fma_f64 v[13:14], v[25:26], 2.0, -v[13:14]
	;; [unrolled: 1-line block ×6, first 2 shown]
	v_add_f64 v[15:16], v[23:24], v[15:16]
	v_add_f64 v[17:18], v[5:6], v[11:12]
	v_add_f64 v[40:41], v[3:4], -v[19:20]
	v_fma_f64 v[42:43], v[7:8], 2.0, -v[29:30]
	v_fma_f64 v[19:20], v[21:22], 2.0, -v[31:32]
	v_add_f64 v[7:8], v[38:39], -v[13:14]
	v_add_f64 v[11:12], v[25:26], -v[27:28]
	v_add_f64 v[21:22], v[1:2], -v[9:10]
	v_fma_f64 v[9:10], v[23:24], 2.0, -v[15:16]
	v_fma_f64 v[44:45], v[5:6], 2.0, -v[17:18]
	v_fma_f64 v[5:6], v[31:32], s[0:1], v[29:30]
	v_fma_f64 v[13:14], v[15:16], s[0:1], v[17:18]
	v_fma_f64 v[46:47], v[3:4], 2.0, -v[40:41]
	v_fma_f64 v[27:28], v[38:39], 2.0, -v[7:8]
	;; [unrolled: 1-line block ×4, first 2 shown]
	v_fma_f64 v[23:24], v[19:20], s[6:7], v[42:43]
	v_fma_f64 v[38:39], v[9:10], s[6:7], v[44:45]
	;; [unrolled: 1-line block ×3, first 2 shown]
	v_add_f64 v[7:8], v[40:41], -v[7:8]
	v_add_f64 v[5:6], v[21:22], v[11:12]
	v_fma_f64 v[1:2], v[31:32], s[0:1], v[13:14]
	v_add_f64 v[15:16], v[46:47], -v[25:26]
	v_add_f64 v[13:14], v[48:49], -v[27:28]
	v_fma_f64 v[11:12], v[9:10], s[6:7], v[23:24]
	v_fma_f64 v[9:10], v[19:20], s[0:1], v[38:39]
	v_fma_f64 v[19:20], v[29:30], 2.0, -v[3:4]
	v_fma_f64 v[23:24], v[40:41], 2.0, -v[7:8]
	;; [unrolled: 1-line block ×8, first 2 shown]
	v_add3_u32 v38, 0, v50, v37
	ds_write_b128 v38, v[5:8] offset:4800
	ds_write_b128 v38, v[21:24] offset:1600
	;; [unrolled: 1-line block ×5, first 2 shown]
	ds_write_b128 v38, v[29:32]
	ds_write_b128 v38, v[25:28] offset:800
	ds_write_b128 v38, v[1:4] offset:5600
.LBB0_16:
	s_or_b64 exec, exec, s[4:5]
	s_waitcnt lgkmcnt(0)
	s_barrier
	s_and_saveexec_b64 s[0:1], vcc
	s_cbranch_execz .LBB0_18
; %bb.17:
	v_mul_lo_u16_e32 v1, 13, v36
	v_lshrrev_b16_e32 v1, 9, v1
	v_mul_lo_u16_e32 v1, 40, v1
	v_sub_u16_e32 v39, v36, v1
	v_mov_b32_e32 v1, 6
	v_lshlrev_b32_sdwa v17, v1, v39 dst_sel:DWORD dst_unused:UNUSED_PAD src0_sel:DWORD src1_sel:BYTE_0
	global_load_dwordx4 v[1:4], v17, s[16:17] offset:576
	global_load_dwordx4 v[5:8], v17, s[16:17] offset:560
	;; [unrolled: 1-line block ×4, first 2 shown]
	v_mov_b32_e32 v17, v34
	v_mul_u32_u24_e32 v18, 0xa0, v36
	s_movk_i32 s18, 0xa4
	s_movk_i32 s19, 0xc8
	s_lshl_b64 s[2:3], s[2:3], 4
	v_mad_u64_u32 v[34:35], s[10:11], s11, v35, v[17:18]
	v_mul_u32_u24_sdwa v0, v0, s18 dst_sel:DWORD dst_unused:UNUSED_PAD src0_sel:WORD_0 src1_sel:DWORD
	s_add_u32 s10, s12, s2
	v_mul_lo_u16_sdwa v0, v0, s19 dst_sel:DWORD dst_unused:UNUSED_PAD src0_sel:WORD_1 src1_sel:DWORD
	s_addc_u32 s2, s13, s3
	v_add_u32_sdwa v55, v39, v0 dst_sel:DWORD dst_unused:UNUSED_PAD src0_sel:BYTE_0 src1_sel:DWORD
	v_mov_b32_e32 v43, s2
	v_mad_u64_u32 v[39:40], s[2:3], s8, v55, 0
	v_add_u32_e32 v44, 40, v55
	v_mad_u64_u32 v[41:42], s[2:3], s8, v44, 0
	v_add3_u32 v35, 0, v18, v37
	v_lshlrev_b64 v[33:34], 4, v[33:34]
	ds_read_b128 v[17:20], v35 offset:12800
	ds_read_b128 v[21:24], v35 offset:19200
	;; [unrolled: 1-line block ×4, first 2 shown]
	ds_read_b128 v[35:38], v35
	v_add_co_u32_e32 v56, vcc, s10, v33
	v_mov_b32_e32 v0, v40
	v_addc_co_u32_e32 v57, vcc, v43, v34, vcc
	s_mov_b32 s4, 0x134454ff
	s_mov_b32 s5, 0x3fee6f0e
	;; [unrolled: 1-line block ×9, first 2 shown]
	s_waitcnt vmcnt(3)
	v_mad_u64_u32 v[33:34], s[2:3], s9, v55, v[0:1]
	v_mov_b32_e32 v0, v42
	v_mad_u64_u32 v[44:45], s[2:3], s9, v44, v[0:1]
	s_waitcnt lgkmcnt(4)
	v_mul_f64 v[42:43], v[17:18], v[3:4]
	v_mul_f64 v[3:4], v[19:20], v[3:4]
	s_waitcnt vmcnt(2) lgkmcnt(1)
	v_mul_f64 v[45:46], v[29:30], v[7:8]
	s_waitcnt vmcnt(1)
	v_mul_f64 v[47:48], v[21:22], v[11:12]
	s_waitcnt vmcnt(0)
	v_mul_f64 v[49:50], v[25:26], v[15:16]
	v_mul_f64 v[11:12], v[23:24], v[11:12]
	v_mov_b32_e32 v40, v33
	v_fma_f64 v[19:20], v[19:20], v[1:2], -v[42:43]
	v_fma_f64 v[0:1], v[17:18], v[1:2], v[3:4]
	v_mul_f64 v[2:3], v[31:32], v[7:8]
	v_mul_f64 v[7:8], v[27:28], v[15:16]
	v_fma_f64 v[17:18], v[31:32], v[5:6], -v[45:46]
	v_fma_f64 v[23:24], v[23:24], v[9:10], -v[47:48]
	;; [unrolled: 1-line block ×3, first 2 shown]
	v_fma_f64 v[9:10], v[21:22], v[9:10], v[11:12]
	v_lshlrev_b64 v[15:16], 4, v[39:40]
	v_fma_f64 v[2:3], v[29:30], v[5:6], v[2:3]
	v_fma_f64 v[4:5], v[25:26], v[13:14], v[7:8]
	v_add_f64 v[6:7], v[19:20], -v[17:18]
	v_add_co_u32_e32 v21, vcc, v56, v15
	v_add_f64 v[11:12], v[23:24], -v[27:28]
	v_addc_co_u32_e32 v22, vcc, v57, v16, vcc
	v_add_f64 v[15:16], v[17:18], v[27:28]
	v_add_f64 v[29:30], v[17:18], -v[19:20]
	v_add_f64 v[31:32], v[27:28], -v[23:24]
	v_add_f64 v[33:34], v[19:20], v[23:24]
	s_waitcnt lgkmcnt(0)
	v_add_f64 v[39:40], v[37:38], v[17:18]
	v_add_f64 v[47:48], v[2:3], v[4:5]
	v_add_f64 v[11:12], v[6:7], v[11:12]
	v_add_f64 v[6:7], v[0:1], v[9:10]
	v_add_f64 v[25:26], v[2:3], -v[4:5]
	v_add_f64 v[42:43], v[0:1], -v[2:3]
	;; [unrolled: 1-line block ×3, first 2 shown]
	v_add_f64 v[2:3], v[35:36], v[2:3]
	v_add_f64 v[13:14], v[0:1], -v[9:10]
	v_add_f64 v[45:46], v[9:10], -v[4:5]
	v_add_f64 v[17:18], v[17:18], -v[27:28]
	v_add_f64 v[49:50], v[19:20], -v[23:24]
	v_fma_f64 v[15:16], v[15:16], -0.5, v[37:38]
	v_add_f64 v[29:30], v[29:30], v[31:32]
	v_fma_f64 v[31:32], v[33:34], -0.5, v[37:38]
	v_add_f64 v[19:20], v[39:40], v[19:20]
	v_fma_f64 v[37:38], v[47:48], -0.5, v[35:36]
	v_fma_f64 v[6:7], v[6:7], -0.5, v[35:36]
	v_add_f64 v[0:1], v[2:3], v[0:1]
	v_add_f64 v[53:54], v[4:5], -v[9:10]
	v_add_f64 v[33:34], v[42:43], v[45:46]
	v_fma_f64 v[2:3], v[13:14], s[4:5], v[15:16]
	v_fma_f64 v[15:16], v[13:14], s[16:17], v[15:16]
	;; [unrolled: 1-line block ×4, first 2 shown]
	v_add_f64 v[19:20], v[19:20], v[23:24]
	v_fma_f64 v[23:24], v[49:50], s[16:17], v[37:38]
	v_fma_f64 v[37:38], v[49:50], s[4:5], v[37:38]
	v_fma_f64 v[42:43], v[17:18], s[4:5], v[6:7]
	v_fma_f64 v[6:7], v[17:18], s[16:17], v[6:7]
	v_add_f64 v[0:1], v[0:1], v[9:10]
	v_add_f64 v[39:40], v[51:52], v[53:54]
	v_fma_f64 v[8:9], v[25:26], s[6:7], v[2:3]
	v_fma_f64 v[15:16], v[25:26], s[14:15], v[15:16]
	v_fma_f64 v[25:26], v[13:14], s[6:7], v[35:36]
	v_fma_f64 v[31:32], v[13:14], s[14:15], v[31:32]
	v_add_f64 v[2:3], v[19:20], v[27:28]
	v_fma_f64 v[23:24], v[17:18], s[14:15], v[23:24]
	v_fma_f64 v[27:28], v[17:18], s[6:7], v[37:38]
	;; [unrolled: 1-line block ×4, first 2 shown]
	v_add_f64 v[0:1], v[0:1], v[4:5]
	v_add_u32_e32 v20, 0x50, v55
	v_fma_f64 v[6:7], v[11:12], s[0:1], v[8:9]
	v_fma_f64 v[10:11], v[11:12], s[0:1], v[15:16]
	;; [unrolled: 1-line block ×8, first 2 shown]
	v_mad_u64_u32 v[23:24], s[0:1], s8, v20, 0
	v_mov_b32_e32 v42, v44
	global_store_dwordx4 v[21:22], v[0:3], off
	s_nop 0
	v_lshlrev_b64 v[0:1], 4, v[41:42]
	v_mov_b32_e32 v2, v24
	v_mad_u64_u32 v[2:3], s[0:1], s9, v20, v[2:3]
	v_add_co_u32_e32 v0, vcc, v56, v0
	v_addc_co_u32_e32 v1, vcc, v57, v1, vcc
	global_store_dwordx4 v[0:1], v[16:19], off
	v_mov_b32_e32 v24, v2
	v_add_u32_e32 v16, 0x78, v55
	v_mad_u64_u32 v[2:3], s[0:1], s8, v16, 0
	v_add_u32_e32 v19, 0xa0, v55
	v_lshlrev_b64 v[0:1], 4, v[23:24]
	v_mad_u64_u32 v[16:17], s[0:1], s9, v16, v[3:4]
	v_mad_u64_u32 v[17:18], s[0:1], s8, v19, 0
	v_add_co_u32_e32 v0, vcc, v56, v0
	v_addc_co_u32_e32 v1, vcc, v57, v1, vcc
	v_mov_b32_e32 v3, v16
	global_store_dwordx4 v[0:1], v[8:11], off
	v_lshlrev_b64 v[0:1], 4, v[2:3]
	v_mov_b32_e32 v2, v18
	v_mad_u64_u32 v[2:3], s[0:1], s9, v19, v[2:3]
	v_add_co_u32_e32 v0, vcc, v56, v0
	v_addc_co_u32_e32 v1, vcc, v57, v1, vcc
	v_mov_b32_e32 v18, v2
	global_store_dwordx4 v[0:1], v[4:7], off
	v_lshlrev_b64 v[0:1], 4, v[17:18]
	v_add_co_u32_e32 v0, vcc, v56, v0
	v_addc_co_u32_e32 v1, vcc, v57, v1, vcc
	global_store_dwordx4 v[0:1], v[12:15], off
.LBB0_18:
	s_endpgm
	.section	.rodata,"a",@progbits
	.p2align	6, 0x0
	.amdhsa_kernel fft_rtc_back_len200_factors_5_8_5_wgs_400_tpt_40_dp_ip_CI_sbcc_dirReg_intrinsicRead
		.amdhsa_group_segment_fixed_size 0
		.amdhsa_private_segment_fixed_size 0
		.amdhsa_kernarg_size 96
		.amdhsa_user_sgpr_count 6
		.amdhsa_user_sgpr_private_segment_buffer 1
		.amdhsa_user_sgpr_dispatch_ptr 0
		.amdhsa_user_sgpr_queue_ptr 0
		.amdhsa_user_sgpr_kernarg_segment_ptr 1
		.amdhsa_user_sgpr_dispatch_id 0
		.amdhsa_user_sgpr_flat_scratch_init 0
		.amdhsa_user_sgpr_private_segment_size 0
		.amdhsa_uses_dynamic_stack 0
		.amdhsa_system_sgpr_private_segment_wavefront_offset 0
		.amdhsa_system_sgpr_workgroup_id_x 1
		.amdhsa_system_sgpr_workgroup_id_y 0
		.amdhsa_system_sgpr_workgroup_id_z 0
		.amdhsa_system_sgpr_workgroup_info 0
		.amdhsa_system_vgpr_workitem_id 0
		.amdhsa_next_free_vgpr 62
		.amdhsa_next_free_sgpr 43
		.amdhsa_reserve_vcc 1
		.amdhsa_reserve_flat_scratch 0
		.amdhsa_float_round_mode_32 0
		.amdhsa_float_round_mode_16_64 0
		.amdhsa_float_denorm_mode_32 3
		.amdhsa_float_denorm_mode_16_64 3
		.amdhsa_dx10_clamp 1
		.amdhsa_ieee_mode 1
		.amdhsa_fp16_overflow 0
		.amdhsa_exception_fp_ieee_invalid_op 0
		.amdhsa_exception_fp_denorm_src 0
		.amdhsa_exception_fp_ieee_div_zero 0
		.amdhsa_exception_fp_ieee_overflow 0
		.amdhsa_exception_fp_ieee_underflow 0
		.amdhsa_exception_fp_ieee_inexact 0
		.amdhsa_exception_int_div_zero 0
	.end_amdhsa_kernel
	.text
.Lfunc_end0:
	.size	fft_rtc_back_len200_factors_5_8_5_wgs_400_tpt_40_dp_ip_CI_sbcc_dirReg_intrinsicRead, .Lfunc_end0-fft_rtc_back_len200_factors_5_8_5_wgs_400_tpt_40_dp_ip_CI_sbcc_dirReg_intrinsicRead
                                        ; -- End function
	.section	.AMDGPU.csdata,"",@progbits
; Kernel info:
; codeLenInByte = 4528
; NumSgprs: 47
; NumVgprs: 62
; ScratchSize: 0
; MemoryBound: 0
; FloatMode: 240
; IeeeMode: 1
; LDSByteSize: 0 bytes/workgroup (compile time only)
; SGPRBlocks: 5
; VGPRBlocks: 15
; NumSGPRsForWavesPerEU: 47
; NumVGPRsForWavesPerEU: 62
; Occupancy: 4
; WaveLimiterHint : 1
; COMPUTE_PGM_RSRC2:SCRATCH_EN: 0
; COMPUTE_PGM_RSRC2:USER_SGPR: 6
; COMPUTE_PGM_RSRC2:TRAP_HANDLER: 0
; COMPUTE_PGM_RSRC2:TGID_X_EN: 1
; COMPUTE_PGM_RSRC2:TGID_Y_EN: 0
; COMPUTE_PGM_RSRC2:TGID_Z_EN: 0
; COMPUTE_PGM_RSRC2:TIDIG_COMP_CNT: 0
	.type	__hip_cuid_7808c252f17c85b0,@object ; @__hip_cuid_7808c252f17c85b0
	.section	.bss,"aw",@nobits
	.globl	__hip_cuid_7808c252f17c85b0
__hip_cuid_7808c252f17c85b0:
	.byte	0                               ; 0x0
	.size	__hip_cuid_7808c252f17c85b0, 1

	.ident	"AMD clang version 19.0.0git (https://github.com/RadeonOpenCompute/llvm-project roc-6.4.0 25133 c7fe45cf4b819c5991fe208aaa96edf142730f1d)"
	.section	".note.GNU-stack","",@progbits
	.addrsig
	.addrsig_sym __hip_cuid_7808c252f17c85b0
	.amdgpu_metadata
---
amdhsa.kernels:
  - .args:
      - .actual_access:  read_only
        .address_space:  global
        .offset:         0
        .size:           8
        .value_kind:     global_buffer
      - .address_space:  global
        .offset:         8
        .size:           8
        .value_kind:     global_buffer
      - .offset:         16
        .size:           8
        .value_kind:     by_value
      - .actual_access:  read_only
        .address_space:  global
        .offset:         24
        .size:           8
        .value_kind:     global_buffer
      - .actual_access:  read_only
        .address_space:  global
        .offset:         32
        .size:           8
        .value_kind:     global_buffer
      - .offset:         40
        .size:           8
        .value_kind:     by_value
      - .actual_access:  read_only
        .address_space:  global
        .offset:         48
        .size:           8
        .value_kind:     global_buffer
      - .actual_access:  read_only
        .address_space:  global
        .offset:         56
        .size:           8
        .value_kind:     global_buffer
      - .offset:         64
        .size:           4
        .value_kind:     by_value
      - .actual_access:  read_only
        .address_space:  global
        .offset:         72
        .size:           8
        .value_kind:     global_buffer
      - .actual_access:  read_only
        .address_space:  global
        .offset:         80
        .size:           8
        .value_kind:     global_buffer
      - .address_space:  global
        .offset:         88
        .size:           8
        .value_kind:     global_buffer
    .group_segment_fixed_size: 0
    .kernarg_segment_align: 8
    .kernarg_segment_size: 96
    .language:       OpenCL C
    .language_version:
      - 2
      - 0
    .max_flat_workgroup_size: 400
    .name:           fft_rtc_back_len200_factors_5_8_5_wgs_400_tpt_40_dp_ip_CI_sbcc_dirReg_intrinsicRead
    .private_segment_fixed_size: 0
    .sgpr_count:     47
    .sgpr_spill_count: 0
    .symbol:         fft_rtc_back_len200_factors_5_8_5_wgs_400_tpt_40_dp_ip_CI_sbcc_dirReg_intrinsicRead.kd
    .uniform_work_group_size: 1
    .uses_dynamic_stack: false
    .vgpr_count:     62
    .vgpr_spill_count: 0
    .wavefront_size: 64
amdhsa.target:   amdgcn-amd-amdhsa--gfx906
amdhsa.version:
  - 1
  - 2
...

	.end_amdgpu_metadata
